;; amdgpu-corpus repo=zjin-lcf/HeCBench kind=compiled arch=gfx1250 opt=O3
	.amdgcn_target "amdgcn-amd-amdhsa--gfx1250"
	.amdhsa_code_object_version 6
	.text
	.protected	_Z11postprocessPKfPfS0_S0_S0_S1_S1_Piffffiiiiiff ; -- Begin function _Z11postprocessPKfPfS0_S0_S0_S1_S1_Piffffiiiiiff
	.globl	_Z11postprocessPKfPfS0_S0_S0_S1_S1_Piffffiiiiiff
	.p2align	8
	.type	_Z11postprocessPKfPfS0_S0_S0_S1_S1_Piffffiiiiiff,@function
_Z11postprocessPKfPfS0_S0_S0_S1_S1_Piffffiiiiiff: ; @_Z11postprocessPKfPfS0_S0_S0_S1_S1_Piffffiiiiiff
; %bb.0:
	s_load_b256 s[4:11], s[0:1], 0x40
	s_mov_b32 s2, exec_lo
	s_wait_kmcnt 0x0
	v_cmpx_gt_i32_e64 s10, v0
	s_cbranch_execz .LBB0_9
; %bb.1:
	s_bfe_u32 s2, ttmp6, 0x4000c
	s_and_b32 s3, ttmp6, 15
	s_add_co_i32 s2, s2, 1
	s_getreg_b32 s12, hwreg(HW_REG_IB_STS2, 6, 4)
	s_mul_i32 s2, ttmp9, s2
	v_mov_b32_e32 v16, 0
	s_add_co_i32 s3, s3, s2
	s_cmp_eq_u32 s12, 0
	s_mov_b32 s29, 0
	s_cselect_b32 s27, ttmp9, s3
	s_clause 0x1
	s_load_b64 s[2:3], s[0:1], 0x0
	s_load_b128 s[16:19], s[0:1], 0x18
	v_mad_u32 v1, s10, s27, v0
	s_abs_i32 s33, s8
	s_abs_i32 s28, s27
	s_cvt_f32_u32 s10, s33
	s_sub_co_i32 s21, 0, s33
	s_mov_b32 s31, s29
	s_delay_alu instid0(SALU_CYCLE_1) | instskip(NEXT) | instid1(VALU_DEP_1)
	v_rcp_iflag_f32_e32 v7, s10
	v_mul_lo_u32 v2, v1, s11
	s_delay_alu instid0(TRANS32_DEP_1)
	v_readfirstlane_b32 s10, v7
	s_mul_f32 s20, s10, 0x4f7ffffe
	s_mov_b32 s10, 1
	s_wait_kmcnt 0x0
	global_load_b32 v3, v2, s[2:3] scale_offset
	s_clause 0x1
	s_load_b128 s[12:15], s[0:1], 0x30
	s_load_b96 s[24:26], s[0:1], 0x60
	s_cvt_u32_f32 s20, s20
	s_delay_alu instid0(SALU_CYCLE_3) | instskip(NEXT) | instid1(SALU_CYCLE_1)
	s_mul_i32 s21, s21, s20
	s_mul_hi_u32 s21, s20, s21
	s_delay_alu instid0(SALU_CYCLE_1) | instskip(SKIP_4) | instid1(VALU_DEP_2)
	s_add_co_i32 s30, s20, s21
	s_cmp_lt_i32 s11, 2
	s_wait_loadcnt 0x0
	v_mul_f32_e32 v4, 0xbfb8aa3b, v3
	v_cmp_nlt_f32_e32 vcc_lo, 0x42ce8ed0, v3
	v_fma_f32 v5, 0xbfb8aa3b, v3, -v4
	v_rndne_f32_e32 v6, v4
	s_delay_alu instid0(VALU_DEP_1) | instskip(NEXT) | instid1(VALU_DEP_1)
	v_dual_fmac_f32 v5, 0xb2a5705f, v3 :: v_dual_sub_f32 v4, v4, v6
	v_add_f32_e32 v4, v4, v5
	v_cvt_i32_f32_e32 v5, v6
	s_delay_alu instid0(VALU_DEP_2) | instskip(SKIP_1) | instid1(TRANS32_DEP_1)
	v_exp_f32_e32 v4, v4
	v_nop
	v_ldexp_f32 v4, v4, v5
	s_delay_alu instid0(VALU_DEP_1) | instskip(SKIP_1) | instid1(VALU_DEP_2)
	v_cndmask_b32_e32 v4, 0, v4, vcc_lo
	v_cmp_ngt_f32_e32 vcc_lo, 0xc2b17218, v3
	v_cndmask_b32_e32 v3, 0x7f800000, v4, vcc_lo
	s_delay_alu instid0(VALU_DEP_1) | instskip(NEXT) | instid1(VALU_DEP_1)
	v_add_f32_e32 v3, 1.0, v3
	v_div_scale_f32 v4, null, v3, v3, 1.0
	s_delay_alu instid0(VALU_DEP_1) | instskip(SKIP_1) | instid1(TRANS32_DEP_1)
	v_rcp_f32_e32 v5, v4
	v_nop
	v_fma_f32 v6, -v4, v5, 1.0
	s_delay_alu instid0(VALU_DEP_1) | instskip(SKIP_1) | instid1(VALU_DEP_1)
	v_fmac_f32_e32 v5, v6, v5
	v_div_scale_f32 v6, vcc_lo, 1.0, v3, 1.0
	v_mul_f32_e32 v8, v6, v5
	s_delay_alu instid0(VALU_DEP_1) | instskip(NEXT) | instid1(VALU_DEP_1)
	v_fma_f32 v9, -v4, v8, v6
	v_fmac_f32_e32 v8, v9, v5
	s_delay_alu instid0(VALU_DEP_1) | instskip(NEXT) | instid1(VALU_DEP_1)
	v_fma_f32 v4, -v4, v8, v6
	v_div_fmas_f32 v4, v4, v5, v8
	s_delay_alu instid0(VALU_DEP_1)
	v_div_fixup_f32 v11, v4, v3, 1.0
	s_cbranch_scc1 .LBB0_5
; %bb.2:
	v_dual_mov_b32 v4, 0 :: v_dual_ashrrev_i32 v3, 31, v2
	s_delay_alu instid0(VALU_DEP_1) | instskip(NEXT) | instid1(VALU_DEP_1)
	v_lshl_add_u64 v[2:3], v[2:3], 2, s[2:3]
	v_add_nc_u64_e32 v[2:3], 4, v[2:3]
.LBB0_3:                                ; =>This Inner Loop Header: Depth=1
	global_load_b32 v5, v[2:3], off
	s_wait_xcnt 0x0
	v_add_nc_u64_e32 v[2:3], 4, v[2:3]
	s_wait_loadcnt 0x0
	v_mul_f32_e32 v6, 0xbfb8aa3b, v5
	v_cmp_nlt_f32_e32 vcc_lo, 0x42ce8ed0, v5
	s_delay_alu instid0(VALU_DEP_2) | instskip(SKIP_1) | instid1(VALU_DEP_2)
	v_rndne_f32_e32 v7, v6
	v_fma_f32 v8, 0xbfb8aa3b, v5, -v6
	v_sub_f32_e32 v6, v6, v7
	s_delay_alu instid0(VALU_DEP_2) | instskip(SKIP_1) | instid1(VALU_DEP_2)
	v_fmac_f32_e32 v8, 0xb2a5705f, v5
	v_cvt_i32_f32_e32 v7, v7
	v_add_f32_e32 v6, v6, v8
	s_delay_alu instid0(VALU_DEP_1) | instskip(SKIP_1) | instid1(TRANS32_DEP_1)
	v_exp_f32_e32 v6, v6
	v_nop
	v_ldexp_f32 v6, v6, v7
	s_delay_alu instid0(VALU_DEP_1) | instskip(SKIP_1) | instid1(VALU_DEP_2)
	v_cndmask_b32_e32 v6, 0, v6, vcc_lo
	v_cmp_ngt_f32_e32 vcc_lo, 0xc2b17218, v5
	v_cndmask_b32_e32 v5, 0x7f800000, v6, vcc_lo
	s_delay_alu instid0(VALU_DEP_1) | instskip(NEXT) | instid1(VALU_DEP_1)
	v_add_f32_e32 v5, 1.0, v5
	v_div_scale_f32 v6, null, v5, v5, 1.0
	v_div_scale_f32 v9, vcc_lo, 1.0, v5, 1.0
	s_delay_alu instid0(VALU_DEP_2) | instskip(SKIP_1) | instid1(TRANS32_DEP_1)
	v_rcp_f32_e32 v7, v6
	v_nop
	v_fma_f32 v8, -v6, v7, 1.0
	s_delay_alu instid0(VALU_DEP_1) | instskip(NEXT) | instid1(VALU_DEP_1)
	v_fmac_f32_e32 v7, v8, v7
	v_mul_f32_e32 v8, v9, v7
	s_delay_alu instid0(VALU_DEP_1) | instskip(NEXT) | instid1(VALU_DEP_1)
	v_fma_f32 v10, -v6, v8, v9
	v_fmac_f32_e32 v8, v10, v7
	s_delay_alu instid0(VALU_DEP_1) | instskip(NEXT) | instid1(VALU_DEP_1)
	v_fma_f32 v6, -v6, v8, v9
	v_div_fmas_f32 v6, v6, v7, v8
	s_delay_alu instid0(VALU_DEP_1) | instskip(NEXT) | instid1(VALU_DEP_1)
	v_div_fixup_f32 v5, v6, v5, 1.0
	v_cmp_gt_f32_e32 vcc_lo, v5, v11
	v_cndmask_b32_e64 v4, v4, s10, vcc_lo
	v_cndmask_b32_e32 v11, v11, v5, vcc_lo
	s_add_co_i32 s10, s10, 1
	s_delay_alu instid0(SALU_CYCLE_1)
	s_cmp_eq_u32 s11, s10
	s_cbranch_scc0 .LBB0_3
; %bb.4:
	v_cvt_f32_u32_e32 v16, v4
.LBB0_5:
	s_clause 0x1
	s_load_b128 s[20:23], s[0:1], 0x8
	s_load_b64 s[2:3], s[0:1], 0x28
	s_wait_kmcnt 0x0
	v_cmp_le_f32_e32 vcc_lo, s25, v11
	s_ashr_i32 s11, s27, 31
	s_ashr_i32 s34, s8, 31
	s_mul_u64 s[0:1], s[28:29], s[30:31]
	s_and_b32 exec_lo, exec_lo, vcc_lo
	s_cbranch_execz .LBB0_9
; %bb.6:
	v_mul_lo_u32 v18, v1, s24
	global_load_b128 v[2:5], v0, s[16:17] scale_offset
	s_mul_i32 s0, s1, s33
	s_xor_b32 s11, s11, s34
	s_sub_co_i32 s0, s28, s0
	s_wait_xcnt 0x0
	s_add_co_i32 s16, s1, 1
	s_sub_co_i32 s17, s0, s33
	s_cmp_ge_u32 s0, s33
	s_mov_b32 s10, exec_lo
	s_cselect_b32 s1, s16, s1
	s_cselect_b32 s0, s17, s0
	v_dual_ashrrev_i32 v19, 31, v18 :: v_dual_lshlrev_b32 v0, 1, v0
	s_add_co_i32 s16, s1, 1
	s_cmp_ge_u32 s0, s33
	s_cselect_b32 s0, s16, s1
	s_delay_alu instid0(VALU_DEP_1)
	v_lshl_add_u64 v[20:21], v[18:19], 2, s[20:21]
	v_and_b32_e32 v0, 0x7fc, v0
	s_xor_b32 s0, s0, s11
	s_clause 0x1
	global_load_b128 v[6:9], v[20:21], off
	global_load_b96 v[12:14], v[20:21], off offset:16
	global_load_b32 v10, v0, s[18:19]
	s_wait_xcnt 0x0
	v_lshlrev_b32_e32 v0, 1, v1
	s_sub_co_i32 s0, s0, s11
	s_delay_alu instid0(SALU_CYCLE_1) | instskip(SKIP_1) | instid1(VALU_DEP_1)
	s_mul_i32 s1, s0, s8
	s_cvt_f32_i32 s0, s0
	v_ashrrev_i32_e32 v1, 31, v0
	s_sub_co_i32 s1, s27, s1
	s_delay_alu instid0(SALU_CYCLE_1) | instskip(SKIP_1) | instid1(VALU_DEP_2)
	s_cvt_f32_i32 s1, s1
	v_mov_b32_e32 v27, s0
	v_lshl_add_u64 v[0:1], v[0:1], 2, s[22:23]
	s_add_co_i32 s0, s9, -1
	v_mov_b32_e32 v26, s1
	s_add_co_i32 s1, s8, -1
	global_load_b64 v[22:23], v[0:1], off
	s_wait_xcnt 0x0
	v_mov_b32_e32 v0, s5
	s_mov_b32 s5, s6
	v_mov_b32_e32 v1, s7
	v_mov_b64_e32 v[24:25], s[4:5]
	s_cvt_f32_i32 s4, s0
	s_cvt_f32_i32 s1, s1
	s_delay_alu instid0(VALU_DEP_1) | instskip(NEXT) | instid1(VALU_DEP_1)
	v_pk_add_f32 v[0:1], v[0:1], v[24:25] neg_lo:[0,1] neg_hi:[0,1]
	v_pk_mul_f32 v[0:1], v[0:1], v[26:27]
	s_delay_alu instid0(VALU_DEP_1) | instskip(NEXT) | instid1(VALU_DEP_2)
	v_div_scale_f32 v15, null, s4, s4, v1
	v_div_scale_f32 v17, null, s1, s1, v0
	v_div_scale_f32 v29, vcc_lo, v1, s4, v1
	s_delay_alu instid0(VALU_DEP_3)
	v_rcp_f32_e32 v19, v15
	v_nop
	v_xor_b32_e32 v15, 0x80000000, v15
	v_rcp_f32_e32 v28, v17
	v_nop
	v_xor_b32_e32 v17, 0x80000000, v17
	v_div_scale_f32 v30, s0, v0, s1, v0
	v_fma_f32 v26, v15, v19, 1.0
	s_delay_alu instid0(TRANS32_DEP_1) | instid1(VALU_DEP_3)
	v_fma_f32 v27, v17, v28, 1.0
	s_delay_alu instid0(VALU_DEP_1) | instskip(NEXT) | instid1(VALU_DEP_1)
	v_dual_fmac_f32 v19, v26, v19 :: v_dual_fmac_f32 v28, v27, v28
	v_dual_mul_f32 v31, v29, v19 :: v_dual_mul_f32 v32, v30, v28
	s_delay_alu instid0(VALU_DEP_1) | instskip(NEXT) | instid1(VALU_DEP_1)
	v_dual_fma_f32 v26, v15, v31, v29 :: v_dual_fma_f32 v27, v17, v32, v30
	v_dual_fmac_f32 v31, v26, v19 :: v_dual_fmac_f32 v32, v27, v28
	s_delay_alu instid0(VALU_DEP_1) | instskip(NEXT) | instid1(VALU_DEP_1)
	v_dual_fmac_f32 v29, v15, v31 :: v_dual_fmac_f32 v30, v17, v32
	v_div_fmas_f32 v15, v29, v19, v31
	s_mov_b32 vcc_lo, s0
	s_delay_alu instid0(VALU_DEP_2) | instskip(NEXT) | instid1(VALU_DEP_2)
	v_div_fmas_f32 v19, v30, v28, v32
	v_div_fixup_f32 v1, v15, s4, v1
	s_delay_alu instid0(VALU_DEP_2) | instskip(NEXT) | instid1(VALU_DEP_1)
	v_div_fixup_f32 v0, v19, s1, v0
	v_pk_add_f32 v[0:1], v[24:25], v[0:1]
	s_wait_loadcnt 0x4
	v_pk_mul_f32 v[26:27], v[2:3], v[2:3]
	s_delay_alu instid0(VALU_DEP_1) | instskip(NEXT) | instid1(VALU_DEP_1)
	v_add_f32_e32 v17, v26, v27
	v_mul_f32_e32 v26, 0x4f800000, v17
	v_cmp_gt_f32_e32 vcc_lo, 0xf800000, v17
	s_delay_alu instid0(VALU_DEP_2) | instskip(SKIP_2) | instid1(VALU_DEP_1)
	v_cndmask_b32_e32 v15, v17, v26, vcc_lo
	s_wait_loadcnt 0x1
	v_dual_mul_f32 v17, 0x3fb8aa3b, v9 :: v_dual_fmac_f32 v10, 0.5, v4
	v_fma_f32 v26, 0x3fb8aa3b, v9, -v17
	v_rndne_f32_e32 v27, v17
	s_delay_alu instid0(VALU_DEP_3) | instskip(NEXT) | instid1(VALU_DEP_3)
	v_fmac_f32_e32 v10, v4, v8
	v_fmac_f32_e32 v26, 0x32a5705f, v9
	v_sqrt_f32_e32 v24, v15
	v_nop
	s_delay_alu instid0(TRANS32_DEP_1) | instskip(NEXT) | instid1(VALU_DEP_1)
	v_dual_add_nc_u32 v32, -1, v24 :: v_dual_add_nc_u32 v33, 1, v24
	v_dual_fma_f32 v34, -v32, v24, v15 :: v_dual_fma_f32 v35, -v33, v24, v15
	s_delay_alu instid0(VALU_DEP_1) | instskip(NEXT) | instid1(VALU_DEP_1)
	v_cmp_ge_f32_e64 s0, 0, v34
	v_cndmask_b32_e64 v24, v24, v32, s0
	s_delay_alu instid0(VALU_DEP_3) | instskip(NEXT) | instid1(VALU_DEP_1)
	v_cmp_lt_f32_e64 s0, 0, v35
	v_cndmask_b32_e64 v24, v24, v33, s0
	v_mul_f32_e32 v19, 0x3fb8aa3b, v12
	s_mov_b32 s0, exec_lo
	s_delay_alu instid0(VALU_DEP_1) | instskip(SKIP_3) | instid1(VALU_DEP_3)
	v_fma_f32 v28, 0x3fb8aa3b, v12, -v19
	v_rndne_f32_e32 v29, v19
	v_sub_f32_e32 v17, v17, v27
	v_cvt_i32_f32_e32 v27, v27
	v_dual_fmac_f32 v28, 0x32a5705f, v12 :: v_dual_sub_f32 v19, v19, v29
	s_delay_alu instid0(VALU_DEP_3) | instskip(SKIP_2) | instid1(VALU_DEP_3)
	v_add_f32_e32 v17, v17, v26
	v_cvt_i32_f32_e32 v26, v29
	v_mul_f32_e32 v29, 0x37800000, v24
	v_exp_f32_e32 v17, v17
	s_delay_alu instid0(VALU_DEP_1) | instskip(SKIP_2) | instid1(TRANS32_DEP_1)
	v_cndmask_b32_e32 v24, v24, v29, vcc_lo
	v_mul_f32_e32 v25, 0x3fb8aa3b, v13
	v_cmp_ngt_f32_e32 vcc_lo, 0xc2ce8ed0, v9
	v_ldexp_f32 v17, v17, v27
	s_delay_alu instid0(VALU_DEP_3) | instskip(SKIP_1) | instid1(VALU_DEP_3)
	v_fma_f32 v30, 0x3fb8aa3b, v13, -v25
	v_rndne_f32_e32 v31, v25
	v_cndmask_b32_e32 v17, 0, v17, vcc_lo
	v_cmp_ngt_f32_e32 vcc_lo, 0xc2ce8ed0, v12
	s_delay_alu instid0(VALU_DEP_3) | instskip(SKIP_2) | instid1(VALU_DEP_3)
	v_dual_sub_f32 v25, v25, v31 :: v_dual_fmac_f32 v30, 0x32a5705f, v13
	v_add_f32_e32 v19, v19, v28
	v_cvt_i32_f32_e32 v28, v31
	v_add_f32_e32 v25, v25, v30
	s_delay_alu instid0(VALU_DEP_3) | instskip(NEXT) | instid1(VALU_DEP_1)
	v_exp_f32_e32 v19, v19
	v_exp_f32_e32 v25, v25
	s_delay_alu instid0(TRANS32_DEP_2) | instskip(NEXT) | instid1(TRANS32_DEP_1)
	v_ldexp_f32 v19, v19, v26
	v_ldexp_f32 v25, v25, v28
	s_delay_alu instid0(VALU_DEP_2) | instskip(SKIP_1) | instid1(VALU_DEP_3)
	v_cndmask_b32_e32 v19, 0, v19, vcc_lo
	v_cmp_ngt_f32_e32 vcc_lo, 0xc2ce8ed0, v13
	v_cndmask_b32_e32 v25, 0, v25, vcc_lo
	v_cmp_class_f32_e64 vcc_lo, v15, 0x260
	v_cndmask_b32_e32 v24, v24, v15, vcc_lo
	v_cmp_nlt_f32_e32 vcc_lo, 0x42b17218, v9
	s_delay_alu instid0(VALU_DEP_2)
	v_pk_fma_f32 v[8:9], v[6:7], v[24:25], v[0:1] op_sel_hi:[1,0,1]
	v_cndmask_b32_e32 v26, 0x7f800000, v17, vcc_lo
	v_cmp_nlt_f32_e32 vcc_lo, 0x42b17218, v12
	v_mbcnt_lo_u32_b32 v12, s10, 0
	v_cndmask_b32_e32 v27, 0x7f800000, v19, vcc_lo
	v_cmp_nlt_f32_e32 vcc_lo, 0x42b17218, v13
	s_delay_alu instid0(VALU_DEP_2) | instskip(SKIP_1) | instid1(VALU_DEP_1)
	v_pk_mul_f32 v[0:1], v[2:3], v[26:27]
	v_cndmask_b32_e32 v13, 0x7f800000, v25, vcc_lo
	v_dual_add_f32 v3, v5, v14 :: v_dual_mul_f32 v2, v4, v13
	s_clause 0x1
	global_store_b96 v[20:21], v[8:10], off
	global_store_b128 v[20:21], v[0:3], off offset:12
                                        ; implicit-def: $vgpr4
	s_wait_xcnt 0x0
	v_cmpx_eq_u32_e32 0, v12
	s_cbranch_execz .LBB0_8
; %bb.7:
	s_bcnt1_i32_b32 s1, s10
	s_delay_alu instid0(SALU_CYCLE_1)
	v_dual_mov_b32 v4, 0 :: v_dual_mov_b32 v5, s1
	global_atomic_add_u32 v4, v4, v5, s[14:15] th:TH_ATOMIC_RETURN scope:SCOPE_DEV
.LBB0_8:
	s_wait_xcnt 0x0
	s_or_b32 exec_lo, exec_lo, s0
	v_subrev_f32_e32 v3, s26, v3
	s_wait_loadcnt 0x0
	v_readfirstlane_b32 s0, v4
	v_cvt_f32_i32_e32 v17, v18
	s_delay_alu instid0(VALU_DEP_3) | instskip(NEXT) | instid1(VALU_DEP_1)
	v_div_scale_f32 v5, null, 0x40490fdb, 0x40490fdb, v3
	v_rcp_f32_e32 v6, v5
	v_nop
	s_delay_alu instid0(TRANS32_DEP_1) | instskip(NEXT) | instid1(VALU_DEP_1)
	v_fma_f32 v7, -v5, v6, 1.0
	v_fmac_f32_e32 v6, v7, v6
	v_div_scale_f32 v13, vcc_lo, v3, 0x40490fdb, v3
	s_delay_alu instid0(VALU_DEP_1) | instskip(NEXT) | instid1(VALU_DEP_1)
	v_mul_f32_e32 v7, v13, v6
	v_fma_f32 v14, -v5, v7, v13
	s_delay_alu instid0(VALU_DEP_1) | instskip(NEXT) | instid1(VALU_DEP_1)
	v_fmac_f32_e32 v7, v14, v6
	v_fma_f32 v5, -v5, v7, v13
	s_delay_alu instid0(VALU_DEP_1) | instskip(SKIP_2) | instid1(VALU_DEP_3)
	v_div_fmas_f32 v5, v5, v6, v7
	v_add_nc_u32_e32 v6, s0, v12
	v_cmp_ngt_f32_e32 vcc_lo, v22, v23
	v_div_fixup_f32 v4, v5, 0x40490fdb, v3
	v_cndmask_b32_e64 v7, 0, 1.0, vcc_lo
	s_delay_alu instid0(VALU_DEP_2) | instskip(SKIP_1) | instid1(VALU_DEP_2)
	v_floor_f32_e32 v5, v4
	v_lshl_add_u32 v4, v6, 3, v6
	v_fmamk_f32 v3, v5, 0xc0490fdb, v3
	s_delay_alu instid0(VALU_DEP_1) | instskip(NEXT) | instid1(VALU_DEP_1)
	v_dual_ashrrev_i32 v5, 31, v4 :: v_dual_add_f32 v3, s26, v3
	v_lshl_add_u64 v[4:5], v[4:5], 2, s[2:3]
	s_delay_alu instid0(VALU_DEP_2)
	v_fmac_f32_e32 v3, 0x40490fdb, v7
	s_clause 0x2
	global_store_b64 v[4:5], v[16:17], off offset:28
	global_store_b96 v[4:5], v[8:10], off
	global_store_b128 v[4:5], v[0:3], off offset:12
	global_store_b32 v6, v11, s[12:13] scale_offset
.LBB0_9:
	s_endpgm
	.section	.rodata,"a",@progbits
	.p2align	6, 0x0
	.amdhsa_kernel _Z11postprocessPKfPfS0_S0_S0_S1_S1_Piffffiiiiiff
		.amdhsa_group_segment_fixed_size 0
		.amdhsa_private_segment_fixed_size 0
		.amdhsa_kernarg_size 108
		.amdhsa_user_sgpr_count 2
		.amdhsa_user_sgpr_dispatch_ptr 0
		.amdhsa_user_sgpr_queue_ptr 0
		.amdhsa_user_sgpr_kernarg_segment_ptr 1
		.amdhsa_user_sgpr_dispatch_id 0
		.amdhsa_user_sgpr_kernarg_preload_length 0
		.amdhsa_user_sgpr_kernarg_preload_offset 0
		.amdhsa_user_sgpr_private_segment_size 0
		.amdhsa_wavefront_size32 1
		.amdhsa_uses_dynamic_stack 0
		.amdhsa_enable_private_segment 0
		.amdhsa_system_sgpr_workgroup_id_x 1
		.amdhsa_system_sgpr_workgroup_id_y 0
		.amdhsa_system_sgpr_workgroup_id_z 0
		.amdhsa_system_sgpr_workgroup_info 0
		.amdhsa_system_vgpr_workitem_id 0
		.amdhsa_next_free_vgpr 36
		.amdhsa_next_free_sgpr 35
		.amdhsa_named_barrier_count 0
		.amdhsa_reserve_vcc 1
		.amdhsa_float_round_mode_32 0
		.amdhsa_float_round_mode_16_64 0
		.amdhsa_float_denorm_mode_32 3
		.amdhsa_float_denorm_mode_16_64 3
		.amdhsa_fp16_overflow 0
		.amdhsa_memory_ordered 1
		.amdhsa_forward_progress 1
		.amdhsa_inst_pref_size 17
		.amdhsa_round_robin_scheduling 0
		.amdhsa_exception_fp_ieee_invalid_op 0
		.amdhsa_exception_fp_denorm_src 0
		.amdhsa_exception_fp_ieee_div_zero 0
		.amdhsa_exception_fp_ieee_overflow 0
		.amdhsa_exception_fp_ieee_underflow 0
		.amdhsa_exception_fp_ieee_inexact 0
		.amdhsa_exception_int_div_zero 0
	.end_amdhsa_kernel
	.text
.Lfunc_end0:
	.size	_Z11postprocessPKfPfS0_S0_S0_S1_S1_Piffffiiiiiff, .Lfunc_end0-_Z11postprocessPKfPfS0_S0_S0_S1_S1_Piffffiiiiiff
                                        ; -- End function
	.set _Z11postprocessPKfPfS0_S0_S0_S1_S1_Piffffiiiiiff.num_vgpr, 36
	.set _Z11postprocessPKfPfS0_S0_S0_S1_S1_Piffffiiiiiff.num_agpr, 0
	.set _Z11postprocessPKfPfS0_S0_S0_S1_S1_Piffffiiiiiff.numbered_sgpr, 35
	.set _Z11postprocessPKfPfS0_S0_S0_S1_S1_Piffffiiiiiff.num_named_barrier, 0
	.set _Z11postprocessPKfPfS0_S0_S0_S1_S1_Piffffiiiiiff.private_seg_size, 0
	.set _Z11postprocessPKfPfS0_S0_S0_S1_S1_Piffffiiiiiff.uses_vcc, 1
	.set _Z11postprocessPKfPfS0_S0_S0_S1_S1_Piffffiiiiiff.uses_flat_scratch, 0
	.set _Z11postprocessPKfPfS0_S0_S0_S1_S1_Piffffiiiiiff.has_dyn_sized_stack, 0
	.set _Z11postprocessPKfPfS0_S0_S0_S1_S1_Piffffiiiiiff.has_recursion, 0
	.set _Z11postprocessPKfPfS0_S0_S0_S1_S1_Piffffiiiiiff.has_indirect_call, 0
	.section	.AMDGPU.csdata,"",@progbits
; Kernel info:
; codeLenInByte = 2068
; TotalNumSgprs: 37
; NumVgprs: 36
; ScratchSize: 0
; MemoryBound: 0
; FloatMode: 240
; IeeeMode: 1
; LDSByteSize: 0 bytes/workgroup (compile time only)
; SGPRBlocks: 0
; VGPRBlocks: 2
; NumSGPRsForWavesPerEU: 37
; NumVGPRsForWavesPerEU: 36
; NamedBarCnt: 0
; Occupancy: 16
; WaveLimiterHint : 0
; COMPUTE_PGM_RSRC2:SCRATCH_EN: 0
; COMPUTE_PGM_RSRC2:USER_SGPR: 2
; COMPUTE_PGM_RSRC2:TRAP_HANDLER: 0
; COMPUTE_PGM_RSRC2:TGID_X_EN: 1
; COMPUTE_PGM_RSRC2:TGID_Y_EN: 0
; COMPUTE_PGM_RSRC2:TGID_Z_EN: 0
; COMPUTE_PGM_RSRC2:TIDIG_COMP_CNT: 0
	.text
	.p2alignl 7, 3214868480
	.fill 96, 4, 3214868480
	.section	.AMDGPU.gpr_maximums,"",@progbits
	.set amdgpu.max_num_vgpr, 0
	.set amdgpu.max_num_agpr, 0
	.set amdgpu.max_num_sgpr, 0
	.text
	.type	__hip_cuid_d8aff931b312a069,@object ; @__hip_cuid_d8aff931b312a069
	.section	.bss,"aw",@nobits
	.globl	__hip_cuid_d8aff931b312a069
__hip_cuid_d8aff931b312a069:
	.byte	0                               ; 0x0
	.size	__hip_cuid_d8aff931b312a069, 1

	.ident	"AMD clang version 22.0.0git (https://github.com/RadeonOpenCompute/llvm-project roc-7.2.4 26084 f58b06dce1f9c15707c5f808fd002e18c2accf7e)"
	.section	".note.GNU-stack","",@progbits
	.addrsig
	.addrsig_sym __hip_cuid_d8aff931b312a069
	.amdgpu_metadata
---
amdhsa.kernels:
  - .args:
      - .actual_access:  read_only
        .address_space:  global
        .offset:         0
        .size:           8
        .value_kind:     global_buffer
      - .address_space:  global
        .offset:         8
        .size:           8
        .value_kind:     global_buffer
      - .actual_access:  read_only
        .address_space:  global
        .offset:         16
        .size:           8
        .value_kind:     global_buffer
      - .actual_access:  read_only
        .address_space:  global
        .offset:         24
        .size:           8
        .value_kind:     global_buffer
      - .actual_access:  read_only
        .address_space:  global
        .offset:         32
        .size:           8
        .value_kind:     global_buffer
      - .actual_access:  write_only
        .address_space:  global
        .offset:         40
        .size:           8
        .value_kind:     global_buffer
      - .actual_access:  write_only
        .address_space:  global
        .offset:         48
        .size:           8
        .value_kind:     global_buffer
      - .address_space:  global
        .offset:         56
        .size:           8
        .value_kind:     global_buffer
      - .offset:         64
        .size:           4
        .value_kind:     by_value
      - .offset:         68
        .size:           4
        .value_kind:     by_value
      - .offset:         72
        .size:           4
        .value_kind:     by_value
      - .offset:         76
        .size:           4
        .value_kind:     by_value
      - .offset:         80
        .size:           4
        .value_kind:     by_value
      - .offset:         84
        .size:           4
        .value_kind:     by_value
      - .offset:         88
        .size:           4
        .value_kind:     by_value
      - .offset:         92
        .size:           4
        .value_kind:     by_value
      - .offset:         96
        .size:           4
        .value_kind:     by_value
      - .offset:         100
        .size:           4
        .value_kind:     by_value
      - .offset:         104
        .size:           4
        .value_kind:     by_value
    .group_segment_fixed_size: 0
    .kernarg_segment_align: 8
    .kernarg_segment_size: 108
    .language:       OpenCL C
    .language_version:
      - 2
      - 0
    .max_flat_workgroup_size: 1024
    .name:           _Z11postprocessPKfPfS0_S0_S0_S1_S1_Piffffiiiiiff
    .private_segment_fixed_size: 0
    .sgpr_count:     37
    .sgpr_spill_count: 0
    .symbol:         _Z11postprocessPKfPfS0_S0_S0_S1_S1_Piffffiiiiiff.kd
    .uniform_work_group_size: 1
    .uses_dynamic_stack: false
    .vgpr_count:     36
    .vgpr_spill_count: 0
    .wavefront_size: 32
amdhsa.target:   amdgcn-amd-amdhsa--gfx1250
amdhsa.version:
  - 1
  - 2
...

	.end_amdgpu_metadata
